;; amdgpu-corpus repo=ROCm/rocFFT kind=compiled arch=gfx906 opt=O3
	.text
	.amdgcn_target "amdgcn-amd-amdhsa--gfx906"
	.amdhsa_code_object_version 6
	.protected	fft_rtc_fwd_len512_factors_8_8_8_wgs_512_tpt_128_half_op_CI_CI_sbrc_erc_z_xy_aligned ; -- Begin function fft_rtc_fwd_len512_factors_8_8_8_wgs_512_tpt_128_half_op_CI_CI_sbrc_erc_z_xy_aligned
	.globl	fft_rtc_fwd_len512_factors_8_8_8_wgs_512_tpt_128_half_op_CI_CI_sbrc_erc_z_xy_aligned
	.p2align	8
	.type	fft_rtc_fwd_len512_factors_8_8_8_wgs_512_tpt_128_half_op_CI_CI_sbrc_erc_z_xy_aligned,@function
fft_rtc_fwd_len512_factors_8_8_8_wgs_512_tpt_128_half_op_CI_CI_sbrc_erc_z_xy_aligned: ; @fft_rtc_fwd_len512_factors_8_8_8_wgs_512_tpt_128_half_op_CI_CI_sbrc_erc_z_xy_aligned
; %bb.0:
	s_load_dwordx8 s[8:15], s[4:5], 0x0
	v_and_b32_e32 v11, 0x7f, v0
	s_waitcnt lgkmcnt(0)
	s_load_dwordx4 s[0:3], s[12:13], 0x8
	s_waitcnt lgkmcnt(0)
	s_add_i32 s0, s0, -1
	s_lshr_b32 s7, s0, 2
	s_add_i32 s12, s7, 1
	s_mul_i32 s13, s12, s2
	v_cvt_f32_u32_e32 v2, s13
	v_cvt_f32_u32_e32 v1, s12
	s_sub_i32 s16, 0, s13
	s_load_dwordx4 s[0:3], s[14:15], 0x0
	v_rcp_iflag_f32_e32 v2, v2
	v_rcp_iflag_f32_e32 v1, v1
	s_waitcnt lgkmcnt(0)
	s_load_dword s3, s[14:15], 0x10
	v_mul_f32_e32 v2, 0x4f7ffffe, v2
	v_cvt_u32_f32_e32 v2, v2
	v_mul_f32_e32 v1, 0x4f7ffffe, v1
	v_cvt_u32_f32_e32 v1, v1
	v_readfirstlane_b32 s18, v2
	s_mul_i32 s16, s16, s18
	s_mul_hi_u32 s16, s18, s16
	s_add_i32 s18, s18, s16
	s_mul_hi_u32 s16, s6, s18
	s_mul_i32 s18, s16, s13
	s_sub_i32 s18, s6, s18
	s_add_i32 s19, s16, 1
	s_sub_i32 s20, s18, s13
	s_cmp_ge_u32 s18, s13
	s_cselect_b32 s16, s19, s16
	s_cselect_b32 s18, s20, s18
	s_add_i32 s19, s16, 1
	s_cmp_ge_u32 s18, s13
	v_readfirstlane_b32 s17, v1
	s_cselect_b32 s16, s19, s16
	s_not_b32 s7, s7
	s_mul_i32 s7, s7, s17
	s_mul_i32 s13, s16, s13
	s_mul_hi_u32 s7, s17, s7
	s_sub_i32 s13, s6, s13
	s_add_i32 s7, s17, s7
	s_mul_hi_u32 s17, s13, s7
	s_mul_i32 s18, s17, s12
	s_sub_i32 s13, s13, s18
	s_add_i32 s19, s17, 1
	s_sub_i32 s18, s13, s12
	s_cmp_ge_u32 s13, s12
	s_cselect_b32 s17, s19, s17
	s_cselect_b32 s13, s18, s13
	s_add_i32 s18, s17, 1
	s_mul_hi_u32 s7, s6, s7
	s_cmp_ge_u32 s13, s12
	s_mul_i32 s7, s7, s12
	s_cselect_b32 s17, s18, s17
	s_sub_i32 s6, s6, s7
	s_sub_i32 s7, s6, s12
	s_cmp_ge_u32 s6, s12
	s_cselect_b32 s6, s7, s6
	s_sub_i32 s7, s6, s12
	s_cmp_ge_u32 s6, s12
	s_cselect_b32 s6, s7, s6
	s_lshl_b32 s18, s6, 2
	s_waitcnt lgkmcnt(0)
	s_mul_i32 s3, s17, s3
	s_mul_i32 s6, s18, s2
	s_add_i32 s6, s6, s3
	s_lshl_b64 s[10:11], s[10:11], 3
	s_add_u32 s14, s14, s10
	s_addc_u32 s15, s15, s11
	s_load_dwordx2 s[20:21], s[14:15], 0x0
	s_load_dwordx2 s[22:23], s[4:5], 0x58
	;; [unrolled: 1-line block ×3, first 2 shown]
	v_mad_u64_u32 v[1:2], s[14:15], s0, v0, 0
	s_waitcnt lgkmcnt(0)
	s_mul_i32 s0, s21, s16
	s_mul_hi_u32 s3, s20, s16
	s_add_i32 s15, s3, s0
	v_mad_u64_u32 v[2:3], s[0:1], s1, v0, v[2:3]
	s_mul_i32 s14, s20, s16
	s_add_u32 s20, s12, s10
	s_addc_u32 s21, s13, s11
	s_lshl_b64 s[0:1], s[14:15], 2
	s_mov_b32 s7, 0
	s_add_u32 s3, s22, s0
	s_addc_u32 s10, s23, s1
	s_lshl_b64 s[0:1], s[6:7], 2
	s_add_u32 s0, s3, s0
	v_lshlrev_b64 v[1:2], 2, v[1:2]
	s_addc_u32 s1, s10, s1
	v_mov_b32_e32 v3, s1
	v_add_co_u32_e32 v1, vcc, s0, v1
	s_mov_b32 s3, s7
	v_addc_co_u32_e32 v2, vcc, v3, v2, vcc
	s_lshl_b64 s[0:1], s[2:3], 2
	v_mov_b32_e32 v4, s1
	v_add_co_u32_e32 v3, vcc, s0, v1
	s_add_i32 s6, s2, s2
	v_addc_co_u32_e32 v4, vcc, v2, v4, vcc
	s_lshl_b64 s[0:1], s[6:7], 2
	v_mov_b32_e32 v6, s1
	v_add_co_u32_e32 v5, vcc, s0, v1
	s_add_i32 s6, s6, s2
	v_addc_co_u32_e32 v6, vcc, v2, v6, vcc
	s_lshl_b64 s[0:1], s[6:7], 2
	v_mov_b32_e32 v8, s1
	v_add_co_u32_e32 v7, vcc, s0, v1
	v_addc_co_u32_e32 v8, vcc, v2, v8, vcc
	global_load_dword v10, v[1:2], off
	global_load_dword v12, v[3:4], off
	;; [unrolled: 1-line block ×4, first 2 shown]
	v_lshrrev_b32_e32 v1, 7, v0
	v_mul_u32_u24_e32 v1, 0x201, v1
	v_lshlrev_b32_e32 v3, 2, v11
	v_lshlrev_b32_e32 v9, 2, v1
	v_add_u32_e32 v18, 0, v3
	v_lshl_add_u32 v2, v0, 2, 0
	v_add3_u32 v8, 0, v9, v3
	v_add_u32_e32 v7, v18, v9
	s_load_dwordx4 s[0:3], s[12:13], 0x0
	s_load_dwordx2 s[6:7], s[12:13], 0x10
	s_load_dwordx2 s[10:11], s[20:21], 0x0
	s_waitcnt lgkmcnt(0)
	s_movk_i32 s7, 0x39a8
	s_mov_b32 s3, 0xb9a8
	v_cmp_gt_u32_e32 vcc, 64, v11
	s_waitcnt vmcnt(3)
	ds_write_b32 v2, v10
	s_waitcnt vmcnt(2)
	ds_write_b32 v2, v12 offset:2052
	s_waitcnt vmcnt(1)
	ds_write_b32 v2, v13 offset:4104
	;; [unrolled: 2-line block ×3, first 2 shown]
	s_waitcnt lgkmcnt(0)
	s_barrier
	ds_read_b32 v10, v8
	ds_read2st64_b32 v[1:2], v7 offset0:1 offset1:2
	ds_read2st64_b32 v[3:4], v7 offset0:3 offset1:4
	;; [unrolled: 1-line block ×3, first 2 shown]
	ds_read_b32 v12, v7 offset:1792
	s_waitcnt lgkmcnt(0)
	s_barrier
	v_pk_add_f16 v4, v10, v4 neg_lo:[0,1] neg_hi:[0,1]
	v_pk_add_f16 v6, v2, v6 neg_lo:[0,1] neg_hi:[0,1]
	;; [unrolled: 1-line block ×4, first 2 shown]
	v_pk_fma_f16 v10, v10, 2.0, v4 op_sel_hi:[1,0,1] neg_lo:[0,0,1] neg_hi:[0,0,1]
	v_pk_fma_f16 v2, v2, 2.0, v6 op_sel_hi:[1,0,1] neg_lo:[0,0,1] neg_hi:[0,0,1]
	;; [unrolled: 1-line block ×4, first 2 shown]
	v_lshrrev_b32_e32 v13, 16, v4
	v_pk_add_f16 v17, v10, v2 neg_lo:[0,1] neg_hi:[0,1]
	v_pk_add_f16 v21, v1, v3 neg_lo:[0,1] neg_hi:[0,1]
	v_sub_f16_sdwa v15, v4, v6 dst_sel:DWORD dst_unused:UNUSED_PAD src0_sel:DWORD src1_sel:WORD_1
	v_sub_f16_sdwa v14, v5, v12 dst_sel:DWORD dst_unused:UNUSED_PAD src0_sel:DWORD src1_sel:WORD_1
	v_lshrrev_b32_e32 v16, 16, v5
	v_add_f16_e32 v20, v13, v6
	v_pk_fma_f16 v6, v10, 2.0, v17 op_sel_hi:[1,0,1] neg_lo:[0,0,1] neg_hi:[0,0,1]
	v_pk_fma_f16 v1, v1, 2.0, v21 op_sel_hi:[1,0,1] neg_lo:[0,0,1] neg_hi:[0,0,1]
	v_fma_f16 v2, v4, 2.0, -v15
	v_add_f16_e32 v3, v16, v12
	v_pk_add_f16 v4, v6, v1 neg_lo:[0,1] neg_hi:[0,1]
	v_fma_f16 v1, v14, s7, v15
	v_fma_f16 v19, v13, 2.0, -v20
	v_fma_f16 v16, v16, 2.0, -v3
	v_fma_f16 v12, v3, s3, v1
	v_fma_f16 v1, v3, s7, v20
	v_fma_f16 v5, v5, 2.0, -v14
	v_fma_f16 v14, v14, s7, v1
	v_fma_f16 v1, v16, s3, v19
	;; [unrolled: 1-line block ×5, first 2 shown]
	v_lshrrev_b32_e32 v16, 16, v17
	v_fma_f16 v3, v15, 2.0, -v12
	v_fma_f16 v5, v2, 2.0, -v1
	v_sub_f16_sdwa v2, v17, v21 dst_sel:DWORD dst_unused:UNUSED_PAD src0_sel:DWORD src1_sel:WORD_1
	v_add_f16_e32 v15, v16, v21
	v_pk_fma_f16 v10, v6, 2.0, v4 op_sel_hi:[1,0,1] neg_lo:[0,0,1] neg_hi:[0,0,1]
	v_fma_f16 v19, v19, 2.0, -v13
	v_fma_f16 v6, v17, 2.0, -v2
	;; [unrolled: 1-line block ×4, first 2 shown]
	s_and_saveexec_b64 s[12:13], vcc
	s_cbranch_execz .LBB0_2
; %bb.1:
	v_mul_u32_u24_e32 v11, 28, v11
	s_mov_b32 s3, 0x5040100
	v_add3_u32 v11, v18, v11, v9
	v_perm_b32 v18, v19, v5, s3
	ds_write2_b32 v11, v10, v18 offset1:1
	v_perm_b32 v18, v17, v3, s3
	v_perm_b32 v20, v16, v6, s3
	ds_write2_b32 v11, v20, v18 offset0:2 offset1:3
	v_perm_b32 v18, v13, v1, s3
	ds_write2_b32 v11, v4, v18 offset0:4 offset1:5
	v_perm_b32 v18, v14, v12, s3
	v_perm_b32 v20, v15, v2, s3
	ds_write2_b32 v11, v20, v18 offset0:6 offset1:7
.LBB0_2:
	s_or_b64 exec, exec, s[12:13]
	v_lshrrev_b32_e32 v18, 16, v4
	s_waitcnt lgkmcnt(0)
	s_barrier
	s_and_saveexec_b64 s[12:13], vcc
	s_cbranch_execz .LBB0_4
; %bb.3:
	ds_read2st64_b32 v[5:6], v7 offset0:1 offset1:2
	ds_read_b32 v10, v8
	ds_read2st64_b32 v[3:4], v7 offset0:3 offset1:4
	ds_read2st64_b32 v[1:2], v7 offset0:5 offset1:6
	ds_read_b32 v12, v7 offset:1792
	s_waitcnt lgkmcnt(4)
	v_lshrrev_b32_e32 v19, 16, v5
	v_lshrrev_b32_e32 v16, 16, v6
	s_waitcnt lgkmcnt(2)
	v_lshrrev_b32_e32 v17, 16, v3
	v_lshrrev_b32_e32 v18, 16, v4
	;; [unrolled: 3-line block ×3, first 2 shown]
	s_waitcnt lgkmcnt(0)
	v_lshrrev_b32_e32 v14, 16, v12
.LBB0_4:
	s_or_b64 exec, exec, s[12:13]
	v_and_b32_e32 v11, 7, v0
	v_mul_u32_u24_e32 v20, 7, v11
	v_lshlrev_b32_e32 v24, 2, v20
	global_load_dwordx4 v[20:23], v24, s[8:9]
	s_mov_b32 s3, 0xb9a8
	s_waitcnt vmcnt(0)
	v_mul_f16_sdwa v25, v19, v20 dst_sel:DWORD dst_unused:UNUSED_PAD src0_sel:DWORD src1_sel:WORD_1
	v_mul_f16_sdwa v26, v16, v21 dst_sel:DWORD dst_unused:UNUSED_PAD src0_sel:DWORD src1_sel:WORD_1
	;; [unrolled: 1-line block ×6, first 2 shown]
	v_fma_f16 v25, v5, v20, -v25
	v_fma_f16 v6, v6, v21, -v26
	v_mul_f16_sdwa v26, v3, v22 dst_sel:DWORD dst_unused:UNUSED_PAD src0_sel:DWORD src1_sel:WORD_1
	v_mul_f16_sdwa v31, v4, v23 dst_sel:DWORD dst_unused:UNUSED_PAD src0_sel:DWORD src1_sel:WORD_1
	v_fma_f16 v29, v3, v22, -v29
	v_fma_f16 v30, v4, v23, -v30
	global_load_dwordx3 v[3:5], v24, s[8:9] offset:16
	v_fma_f16 v19, v19, v20, v27
	v_fma_f16 v16, v16, v21, v28
	;; [unrolled: 1-line block ×4, first 2 shown]
	v_lshrrev_b32_e32 v20, 16, v10
	s_waitcnt vmcnt(0)
	s_barrier
	v_mul_f16_sdwa v21, v13, v3 dst_sel:DWORD dst_unused:UNUSED_PAD src0_sel:DWORD src1_sel:WORD_1
	v_mul_f16_sdwa v22, v15, v4 dst_sel:DWORD dst_unused:UNUSED_PAD src0_sel:DWORD src1_sel:WORD_1
	;; [unrolled: 1-line block ×6, first 2 shown]
	v_fma_f16 v1, v1, v3, -v21
	v_fma_f16 v2, v2, v4, -v22
	v_fma_f16 v3, v13, v3, v23
	v_fma_f16 v4, v15, v4, v24
	v_fma_f16 v12, v12, v5, -v26
	v_fma_f16 v5, v14, v5, v27
	v_sub_f16_e32 v13, v10, v30
	v_sub_f16_e32 v14, v20, v18
	;; [unrolled: 1-line block ×8, first 2 shown]
	v_fma_f16 v15, v10, 2.0, -v13
	v_fma_f16 v18, v20, 2.0, -v14
	;; [unrolled: 1-line block ×8, first 2 shown]
	v_sub_f16_e32 v21, v13, v4
	v_add_f16_e32 v22, v14, v2
	v_sub_f16_e32 v4, v1, v5
	v_add_f16_e32 v5, v3, v12
	v_sub_f16_e32 v6, v15, v6
	v_sub_f16_e32 v12, v18, v10
	v_fma_f16 v23, v13, 2.0, -v21
	v_fma_f16 v24, v14, 2.0, -v22
	v_sub_f16_e32 v13, v16, v20
	v_sub_f16_e32 v2, v19, v17
	v_fma_f16 v17, v1, 2.0, -v4
	v_fma_f16 v1, v3, 2.0, -v5
	v_fma_f16 v3, v4, s7, v21
	v_fma_f16 v20, v5, s7, v22
	v_fma_f16 v19, v19, 2.0, -v2
	v_fma_f16 v25, v17, s3, v23
	v_fma_f16 v10, v5, s3, v3
	v_fma_f16 v5, v15, 2.0, -v6
	v_fma_f16 v26, v18, 2.0, -v12
	;; [unrolled: 1-line block ×3, first 2 shown]
	v_fma_f16 v18, v1, s3, v24
	v_sub_f16_e32 v2, v6, v2
	v_add_f16_e32 v14, v12, v13
	v_fma_f16 v15, v4, s7, v20
	v_fma_f16 v1, v1, s3, v25
	v_sub_f16_e32 v4, v5, v3
	v_sub_f16_e32 v16, v26, v19
	v_fma_f16 v17, v17, s7, v18
	v_fma_f16 v6, v6, 2.0, -v2
	v_fma_f16 v18, v12, 2.0, -v14
	;; [unrolled: 1-line block ×8, first 2 shown]
	s_and_saveexec_b64 s[12:13], vcc
	s_cbranch_execz .LBB0_6
; %bb.5:
	v_lshlrev_b32_e32 v21, 3, v0
	s_movk_i32 s3, 0x1c0
	v_and_or_b32 v11, v21, s3, v11
	v_lshlrev_b32_e32 v11, 2, v11
	s_mov_b32 s3, 0x5040100
	v_add3_u32 v9, 0, v11, v9
	v_perm_b32 v11, v13, v12, s3
	v_perm_b32 v21, v20, v5, s3
	ds_write2_b32 v9, v11, v21 offset1:8
	v_perm_b32 v11, v18, v6, s3
	v_perm_b32 v21, v19, v3, s3
	ds_write2_b32 v9, v11, v21 offset0:16 offset1:24
	v_perm_b32 v11, v16, v4, s3
	v_perm_b32 v21, v17, v1, s3
	ds_write2_b32 v9, v11, v21 offset0:32 offset1:40
	v_perm_b32 v11, v14, v2, s3
	v_perm_b32 v21, v15, v10, s3
	ds_write2_b32 v9, v11, v21 offset0:48 offset1:56
.LBB0_6:
	s_or_b64 exec, exec, s[12:13]
	s_load_dwordx2 s[4:5], s[4:5], 0x60
	s_waitcnt lgkmcnt(0)
	s_barrier
	s_and_saveexec_b64 s[12:13], vcc
	s_cbranch_execz .LBB0_8
; %bb.7:
	ds_read_b32 v12, v8
	ds_read2st64_b32 v[5:6], v7 offset0:1 offset1:2
	ds_read2st64_b32 v[3:4], v7 offset0:3 offset1:4
	;; [unrolled: 1-line block ×3, first 2 shown]
	ds_read_b32 v10, v7 offset:1792
	s_waitcnt lgkmcnt(4)
	v_lshrrev_b32_e32 v13, 16, v12
	s_waitcnt lgkmcnt(3)
	v_lshrrev_b32_e32 v20, 16, v5
	v_lshrrev_b32_e32 v18, 16, v6
	s_waitcnt lgkmcnt(2)
	v_lshrrev_b32_e32 v19, 16, v3
	;; [unrolled: 3-line block ×4, first 2 shown]
.LBB0_8:
	s_or_b64 exec, exec, s[12:13]
	s_barrier
	s_and_saveexec_b64 s[12:13], vcc
	s_cbranch_execz .LBB0_10
; %bb.9:
	v_and_b32_e32 v9, 63, v0
	v_mul_u32_u24_e32 v9, 7, v9
	v_lshlrev_b32_e32 v9, 2, v9
	global_load_dwordx4 v[21:24], v9, s[8:9] offset:224
	global_load_dwordx3 v[25:27], v9, s[8:9] offset:240
	s_movk_i32 s3, 0x39a8
	s_mov_b32 s7, 0xb9a8
	s_waitcnt vmcnt(1)
	v_mul_f16_sdwa v9, v20, v21 dst_sel:DWORD dst_unused:UNUSED_PAD src0_sel:DWORD src1_sel:WORD_1
	v_mul_f16_sdwa v11, v18, v22 dst_sel:DWORD dst_unused:UNUSED_PAD src0_sel:DWORD src1_sel:WORD_1
	;; [unrolled: 1-line block ×4, first 2 shown]
	v_fma_f16 v9, v5, v21, -v9
	v_fma_f16 v11, v6, v22, -v11
	v_mul_f16_sdwa v6, v6, v22 dst_sel:DWORD dst_unused:UNUSED_PAD src0_sel:DWORD src1_sel:WORD_1
	v_mul_f16_sdwa v5, v5, v21 dst_sel:DWORD dst_unused:UNUSED_PAD src0_sel:DWORD src1_sel:WORD_1
	v_fma_f16 v28, v4, v24, -v28
	v_fma_f16 v29, v3, v23, -v29
	v_mul_f16_sdwa v3, v3, v23 dst_sel:DWORD dst_unused:UNUSED_PAD src0_sel:DWORD src1_sel:WORD_1
	v_mul_f16_sdwa v4, v4, v24 dst_sel:DWORD dst_unused:UNUSED_PAD src0_sel:DWORD src1_sel:WORD_1
	v_fma_f16 v6, v18, v22, v6
	v_fma_f16 v3, v19, v23, v3
	;; [unrolled: 1-line block ×3, first 2 shown]
	s_waitcnt vmcnt(0)
	v_mul_f16_sdwa v18, v2, v26 dst_sel:DWORD dst_unused:UNUSED_PAD src0_sel:DWORD src1_sel:WORD_1
	v_fma_f16 v4, v16, v24, v4
	v_mul_f16_sdwa v16, v17, v25 dst_sel:DWORD dst_unused:UNUSED_PAD src0_sel:DWORD src1_sel:WORD_1
	v_mul_f16_sdwa v19, v10, v27 dst_sel:DWORD dst_unused:UNUSED_PAD src0_sel:DWORD src1_sel:WORD_1
	;; [unrolled: 1-line block ×5, first 2 shown]
	v_fma_f16 v14, v14, v26, v18
	v_fma_f16 v1, v1, v25, -v16
	v_fma_f16 v15, v15, v27, v19
	v_fma_f16 v16, v17, v25, v20
	v_fma_f16 v10, v10, v27, -v21
	v_fma_f16 v2, v2, v26, -v22
	v_sub_f16_e32 v17, v12, v28
	v_sub_f16_e32 v14, v6, v14
	;; [unrolled: 1-line block ×8, first 2 shown]
	v_add_f16_e32 v20, v16, v10
	v_add_f16_e32 v21, v4, v2
	v_fma_f16 v12, v12, 2.0, -v17
	v_fma_f16 v2, v11, 2.0, -v2
	;; [unrolled: 1-line block ×8, first 2 shown]
	v_sub_f16_e32 v18, v17, v14
	v_sub_f16_e32 v19, v1, v15
	v_fma_f16 v14, v20, s3, v21
	v_sub_f16_e32 v2, v12, v2
	v_sub_f16_e32 v3, v5, v3
	;; [unrolled: 1-line block ×4, first 2 shown]
	v_fma_f16 v13, v19, s3, v18
	v_fma_f16 v15, v17, 2.0, -v18
	v_fma_f16 v1, v1, 2.0, -v19
	;; [unrolled: 1-line block ×4, first 2 shown]
	v_fma_f16 v14, v19, s3, v14
	v_sub_f16_e32 v17, v2, v3
	v_add_f16_e32 v19, v6, v10
	v_fma_f16 v12, v12, 2.0, -v2
	v_fma_f16 v9, v9, 2.0, -v10
	;; [unrolled: 1-line block ×4, first 2 shown]
	v_fma_f16 v13, v20, s7, v13
	v_fma_f16 v20, v1, s7, v15
	;; [unrolled: 1-line block ×3, first 2 shown]
	v_sub_f16_e32 v9, v12, v9
	v_sub_f16_e32 v3, v10, v3
	v_fma_f16 v16, v16, s7, v20
	v_fma_f16 v1, v1, s3, v22
	v_fma_f16 v2, v2, 2.0, -v17
	v_fma_f16 v6, v6, 2.0, -v19
	;; [unrolled: 1-line block ×8, first 2 shown]
	v_pack_b32_f16 v2, v2, v6
	v_pack_b32_f16 v6, v12, v10
	;; [unrolled: 1-line block ×4, first 2 shown]
	ds_write_b32 v8, v6
	ds_write2st64_b32 v7, v4, v2 offset0:1 offset1:2
	v_pack_b32_f16 v2, v9, v3
	ds_write2st64_b32 v7, v5, v2 offset0:3 offset1:4
	v_pack_b32_f16 v1, v16, v1
	v_pack_b32_f16 v2, v17, v19
	ds_write2st64_b32 v7, v1, v2 offset0:5 offset1:6
	v_pack_b32_f16 v1, v13, v14
	ds_write_b32 v7, v1 offset:1792
.LBB0_10:
	s_or_b64 exec, exec, s[12:13]
	v_and_b32_e32 v6, 3, v0
	v_mad_u64_u32 v[2:3], s[12:13], s0, v6, 0
	s_mul_i32 s7, s1, s18
	s_mul_hi_u32 s8, s0, s18
	v_mov_b32_e32 v1, v3
	s_add_i32 s9, s8, s7
	s_mul_i32 s8, s0, s18
	v_mad_u64_u32 v[3:4], s[0:1], s1, v6, v[1:2]
	s_mul_i32 s7, s11, s16
	s_mul_hi_u32 s11, s10, s16
	v_lshrrev_b32_e32 v1, 2, v0
	s_movk_i32 s0, 0x804
	s_add_i32 s11, s11, s7
	v_mul_lo_u32 v4, v1, s6
	v_mad_u32_u24 v1, v6, s0, 0
	s_lshl_b64 s[0:1], s[8:9], 2
	s_mul_i32 s2, s17, s2
	s_mov_b32 s3, 0
	s_add_u32 s4, s4, s0
	s_addc_u32 s5, s5, s1
	s_lshl_b64 s[0:1], s[2:3], 2
	s_mul_i32 s10, s10, s16
	s_add_u32 s2, s4, s0
	s_addc_u32 s4, s5, s1
	s_lshl_b64 s[0:1], s[10:11], 2
	v_and_b32_e32 v6, 0x1fc, v0
	s_add_u32 s0, s2, s0
	v_lshlrev_b64 v[2:3], 2, v[2:3]
	v_add_u32_e32 v10, v1, v6
	s_addc_u32 s1, s4, s1
	s_waitcnt lgkmcnt(0)
	s_barrier
	v_mov_b32_e32 v5, 0
	ds_read2st64_b32 v[6:7], v10 offset1:2
	v_mov_b32_e32 v8, s1
	v_add_co_u32_e32 v2, vcc, s0, v2
	v_addc_co_u32_e32 v3, vcc, v8, v3, vcc
	v_lshlrev_b64 v[8:9], 2, v[4:5]
	s_lshl_b32 s0, s6, 7
	v_add_co_u32_e32 v8, vcc, v2, v8
	v_addc_co_u32_e32 v9, vcc, v3, v9, vcc
	v_add_u32_e32 v4, s0, v4
	s_waitcnt lgkmcnt(0)
	global_store_dword v[8:9], v6, off
	v_lshlrev_b64 v[8:9], 2, v[4:5]
	v_add_u32_e32 v4, s0, v4
	v_add_co_u32_e32 v8, vcc, v2, v8
	v_addc_co_u32_e32 v9, vcc, v3, v9, vcc
	global_store_dword v[8:9], v7, off
	v_lshlrev_b64 v[8:9], 2, v[4:5]
	v_add_u32_e32 v4, s0, v4
	ds_read2st64_b32 v[6:7], v10 offset0:4 offset1:6
	v_add_co_u32_e32 v8, vcc, v2, v8
	v_lshlrev_b64 v[4:5], 2, v[4:5]
	v_addc_co_u32_e32 v9, vcc, v3, v9, vcc
	v_add_co_u32_e32 v4, vcc, v2, v4
	v_addc_co_u32_e32 v5, vcc, v3, v5, vcc
	v_cmp_gt_u32_e32 vcc, 4, v0
	s_waitcnt lgkmcnt(0)
	global_store_dword v[8:9], v6, off
	global_store_dword v[4:5], v7, off
	s_and_saveexec_b64 s[0:1], vcc
	s_cbranch_execz .LBB0_12
; %bb.11:
	ds_read_b32 v4, v1 offset:2048
	s_lshl_b32 s2, s6, 9
	s_lshl_b64 s[0:1], s[2:3], 2
	v_mov_b32_e32 v1, s1
	v_add_co_u32_e32 v0, vcc, s0, v2
	v_addc_co_u32_e32 v1, vcc, v3, v1, vcc
	s_waitcnt lgkmcnt(0)
	global_store_dword v[0:1], v4, off
.LBB0_12:
	s_endpgm
	.section	.rodata,"a",@progbits
	.p2align	6, 0x0
	.amdhsa_kernel fft_rtc_fwd_len512_factors_8_8_8_wgs_512_tpt_128_half_op_CI_CI_sbrc_erc_z_xy_aligned
		.amdhsa_group_segment_fixed_size 0
		.amdhsa_private_segment_fixed_size 0
		.amdhsa_kernarg_size 104
		.amdhsa_user_sgpr_count 6
		.amdhsa_user_sgpr_private_segment_buffer 1
		.amdhsa_user_sgpr_dispatch_ptr 0
		.amdhsa_user_sgpr_queue_ptr 0
		.amdhsa_user_sgpr_kernarg_segment_ptr 1
		.amdhsa_user_sgpr_dispatch_id 0
		.amdhsa_user_sgpr_flat_scratch_init 0
		.amdhsa_user_sgpr_private_segment_size 0
		.amdhsa_uses_dynamic_stack 0
		.amdhsa_system_sgpr_private_segment_wavefront_offset 0
		.amdhsa_system_sgpr_workgroup_id_x 1
		.amdhsa_system_sgpr_workgroup_id_y 0
		.amdhsa_system_sgpr_workgroup_id_z 0
		.amdhsa_system_sgpr_workgroup_info 0
		.amdhsa_system_vgpr_workitem_id 0
		.amdhsa_next_free_vgpr 32
		.amdhsa_next_free_sgpr 24
		.amdhsa_reserve_vcc 1
		.amdhsa_reserve_flat_scratch 0
		.amdhsa_float_round_mode_32 0
		.amdhsa_float_round_mode_16_64 0
		.amdhsa_float_denorm_mode_32 3
		.amdhsa_float_denorm_mode_16_64 3
		.amdhsa_dx10_clamp 1
		.amdhsa_ieee_mode 1
		.amdhsa_fp16_overflow 0
		.amdhsa_exception_fp_ieee_invalid_op 0
		.amdhsa_exception_fp_denorm_src 0
		.amdhsa_exception_fp_ieee_div_zero 0
		.amdhsa_exception_fp_ieee_overflow 0
		.amdhsa_exception_fp_ieee_underflow 0
		.amdhsa_exception_fp_ieee_inexact 0
		.amdhsa_exception_int_div_zero 0
	.end_amdhsa_kernel
	.text
.Lfunc_end0:
	.size	fft_rtc_fwd_len512_factors_8_8_8_wgs_512_tpt_128_half_op_CI_CI_sbrc_erc_z_xy_aligned, .Lfunc_end0-fft_rtc_fwd_len512_factors_8_8_8_wgs_512_tpt_128_half_op_CI_CI_sbrc_erc_z_xy_aligned
                                        ; -- End function
	.section	.AMDGPU.csdata,"",@progbits
; Kernel info:
; codeLenInByte = 3200
; NumSgprs: 28
; NumVgprs: 32
; ScratchSize: 0
; MemoryBound: 0
; FloatMode: 240
; IeeeMode: 1
; LDSByteSize: 0 bytes/workgroup (compile time only)
; SGPRBlocks: 3
; VGPRBlocks: 7
; NumSGPRsForWavesPerEU: 28
; NumVGPRsForWavesPerEU: 32
; Occupancy: 8
; WaveLimiterHint : 1
; COMPUTE_PGM_RSRC2:SCRATCH_EN: 0
; COMPUTE_PGM_RSRC2:USER_SGPR: 6
; COMPUTE_PGM_RSRC2:TRAP_HANDLER: 0
; COMPUTE_PGM_RSRC2:TGID_X_EN: 1
; COMPUTE_PGM_RSRC2:TGID_Y_EN: 0
; COMPUTE_PGM_RSRC2:TGID_Z_EN: 0
; COMPUTE_PGM_RSRC2:TIDIG_COMP_CNT: 0
	.type	__hip_cuid_88c3349d5c510940,@object ; @__hip_cuid_88c3349d5c510940
	.section	.bss,"aw",@nobits
	.globl	__hip_cuid_88c3349d5c510940
__hip_cuid_88c3349d5c510940:
	.byte	0                               ; 0x0
	.size	__hip_cuid_88c3349d5c510940, 1

	.ident	"AMD clang version 19.0.0git (https://github.com/RadeonOpenCompute/llvm-project roc-6.4.0 25133 c7fe45cf4b819c5991fe208aaa96edf142730f1d)"
	.section	".note.GNU-stack","",@progbits
	.addrsig
	.addrsig_sym __hip_cuid_88c3349d5c510940
	.amdgpu_metadata
---
amdhsa.kernels:
  - .args:
      - .actual_access:  read_only
        .address_space:  global
        .offset:         0
        .size:           8
        .value_kind:     global_buffer
      - .offset:         8
        .size:           8
        .value_kind:     by_value
      - .actual_access:  read_only
        .address_space:  global
        .offset:         16
        .size:           8
        .value_kind:     global_buffer
      - .actual_access:  read_only
        .address_space:  global
        .offset:         24
        .size:           8
        .value_kind:     global_buffer
      - .actual_access:  read_only
        .address_space:  global
        .offset:         32
        .size:           8
        .value_kind:     global_buffer
      - .offset:         40
        .size:           8
        .value_kind:     by_value
      - .actual_access:  read_only
        .address_space:  global
        .offset:         48
        .size:           8
        .value_kind:     global_buffer
      - .actual_access:  read_only
        .address_space:  global
        .offset:         56
        .size:           8
        .value_kind:     global_buffer
      - .offset:         64
        .size:           4
        .value_kind:     by_value
      - .actual_access:  read_only
        .address_space:  global
        .offset:         72
        .size:           8
        .value_kind:     global_buffer
      - .actual_access:  read_only
        .address_space:  global
        .offset:         80
        .size:           8
        .value_kind:     global_buffer
      - .actual_access:  read_only
        .address_space:  global
        .offset:         88
        .size:           8
        .value_kind:     global_buffer
      - .actual_access:  write_only
        .address_space:  global
        .offset:         96
        .size:           8
        .value_kind:     global_buffer
    .group_segment_fixed_size: 0
    .kernarg_segment_align: 8
    .kernarg_segment_size: 104
    .language:       OpenCL C
    .language_version:
      - 2
      - 0
    .max_flat_workgroup_size: 512
    .name:           fft_rtc_fwd_len512_factors_8_8_8_wgs_512_tpt_128_half_op_CI_CI_sbrc_erc_z_xy_aligned
    .private_segment_fixed_size: 0
    .sgpr_count:     28
    .sgpr_spill_count: 0
    .symbol:         fft_rtc_fwd_len512_factors_8_8_8_wgs_512_tpt_128_half_op_CI_CI_sbrc_erc_z_xy_aligned.kd
    .uniform_work_group_size: 1
    .uses_dynamic_stack: false
    .vgpr_count:     32
    .vgpr_spill_count: 0
    .wavefront_size: 64
amdhsa.target:   amdgcn-amd-amdhsa--gfx906
amdhsa.version:
  - 1
  - 2
...

	.end_amdgpu_metadata
